;; amdgpu-corpus repo=ROCm/rocFFT kind=compiled arch=gfx1201 opt=O3
	.text
	.amdgcn_target "amdgcn-amd-amdhsa--gfx1201"
	.amdhsa_code_object_version 6
	.protected	bluestein_single_fwd_len147_dim1_sp_op_CI_CI ; -- Begin function bluestein_single_fwd_len147_dim1_sp_op_CI_CI
	.globl	bluestein_single_fwd_len147_dim1_sp_op_CI_CI
	.p2align	8
	.type	bluestein_single_fwd_len147_dim1_sp_op_CI_CI,@function
bluestein_single_fwd_len147_dim1_sp_op_CI_CI: ; @bluestein_single_fwd_len147_dim1_sp_op_CI_CI
; %bb.0:
	s_load_b128 s[16:19], s[0:1], 0x28
	v_mul_u32_u24_e32 v1, 0xc31, v0
	s_mov_b32 s2, exec_lo
	s_delay_alu instid0(VALU_DEP_1) | instskip(NEXT) | instid1(VALU_DEP_1)
	v_lshrrev_b32_e32 v1, 16, v1
	v_mad_co_u64_u32 v[40:41], null, ttmp9, 3, v[1:2]
	v_mov_b32_e32 v41, 0
	s_wait_kmcnt 0x0
	s_delay_alu instid0(VALU_DEP_1)
	v_cmpx_gt_u64_e64 s[16:17], v[40:41]
	s_cbranch_execz .LBB0_10
; %bb.1:
	s_clause 0x1
	s_load_b128 s[4:7], s[0:1], 0x18
	s_load_b128 s[8:11], s[0:1], 0x0
	v_mul_lo_u16 v1, v1, 21
	v_mul_hi_u32 v15, 0xaaaaaaab, v40
                                        ; implicit-def: $vgpr57
	s_delay_alu instid0(VALU_DEP_2) | instskip(NEXT) | instid1(VALU_DEP_2)
	v_sub_nc_u16 v12, v0, v1
	v_lshrrev_b32_e32 v15, 1, v15
	s_delay_alu instid0(VALU_DEP_2) | instskip(SKIP_1) | instid1(VALU_DEP_3)
	v_and_b32_e32 v59, 0xffff, v12
	v_and_b32_e32 v16, 0xff, v12
	v_lshl_add_u32 v15, v15, 1, v15
	s_delay_alu instid0(VALU_DEP_3) | instskip(NEXT) | instid1(VALU_DEP_3)
	v_lshlrev_b32_e32 v61, 3, v59
	v_mul_lo_u16 v16, v16, 37
	s_wait_kmcnt 0x0
	s_load_b128 s[12:15], s[4:5], 0x0
	v_sub_nc_u32_e32 v15, v40, v15
	s_clause 0x3
	global_load_b64 v[41:42], v61, s[8:9]
	global_load_b64 v[43:44], v61, s[8:9] offset:168
	global_load_b64 v[45:46], v61, s[8:9] offset:336
	;; [unrolled: 1-line block ×3, first 2 shown]
	v_lshrrev_b16 v16, 8, v16
	v_mul_u32_u24_e32 v15, 0x93, v15
	s_delay_alu instid0(VALU_DEP_2) | instskip(NEXT) | instid1(VALU_DEP_2)
	v_sub_nc_u16 v17, v12, v16
	v_lshlrev_b32_e32 v64, 3, v15
	s_delay_alu instid0(VALU_DEP_2) | instskip(SKIP_4) | instid1(VALU_DEP_1)
	v_lshrrev_b16 v17, 1, v17
	s_wait_kmcnt 0x0
	v_mad_co_u64_u32 v[0:1], null, s14, v40, 0
	v_mad_co_u64_u32 v[2:3], null, s12, v59, 0
	s_mul_u64 s[2:3], s[12:13], 0xa8
	v_mad_co_u64_u32 v[4:5], null, s15, v40, v[1:2]
	s_delay_alu instid0(VALU_DEP_1) | instskip(SKIP_1) | instid1(VALU_DEP_1)
	v_mad_co_u64_u32 v[5:6], null, s13, v59, v[3:4]
	v_mov_b32_e32 v1, v4
	v_lshlrev_b64_e32 v[0:1], 3, v[0:1]
	s_delay_alu instid0(VALU_DEP_3) | instskip(NEXT) | instid1(VALU_DEP_1)
	v_mov_b32_e32 v3, v5
	v_lshlrev_b64_e32 v[2:3], 3, v[2:3]
	s_delay_alu instid0(VALU_DEP_3) | instskip(NEXT) | instid1(VALU_DEP_4)
	v_add_co_u32 v0, vcc_lo, s18, v0
	v_add_co_ci_u32_e32 v1, vcc_lo, s19, v1, vcc_lo
	s_delay_alu instid0(VALU_DEP_2) | instskip(SKIP_1) | instid1(VALU_DEP_2)
	v_add_co_u32 v0, vcc_lo, v0, v2
	s_wait_alu 0xfffd
	v_add_co_ci_u32_e32 v1, vcc_lo, v1, v3, vcc_lo
	s_delay_alu instid0(VALU_DEP_2) | instskip(SKIP_1) | instid1(VALU_DEP_2)
	v_add_co_u32 v2, vcc_lo, v0, s2
	s_wait_alu 0xfffd
	v_add_co_ci_u32_e32 v3, vcc_lo, s3, v1, vcc_lo
	global_load_b64 v[0:1], v[0:1], off
	v_add_co_u32 v4, vcc_lo, v2, s2
	s_wait_alu 0xfffd
	v_add_co_ci_u32_e32 v5, vcc_lo, s3, v3, vcc_lo
	global_load_b64 v[2:3], v[2:3], off
	v_add_co_u32 v6, vcc_lo, v4, s2
	s_wait_alu 0xfffd
	v_add_co_ci_u32_e32 v7, vcc_lo, s3, v5, vcc_lo
	s_delay_alu instid0(VALU_DEP_2) | instskip(SKIP_1) | instid1(VALU_DEP_2)
	v_add_co_u32 v8, vcc_lo, v6, s2
	s_wait_alu 0xfffd
	v_add_co_ci_u32_e32 v9, vcc_lo, s3, v7, vcc_lo
	s_delay_alu instid0(VALU_DEP_2) | instskip(SKIP_1) | instid1(VALU_DEP_2)
	;; [unrolled: 4-line block ×3, first 2 shown]
	v_add_co_u32 v13, vcc_lo, v10, s2
	s_wait_alu 0xfffd
	v_add_co_ci_u32_e32 v14, vcc_lo, s3, v11, vcc_lo
	s_load_b64 s[2:3], s[0:1], 0x38
	v_cmp_gt_u16_e32 vcc_lo, 7, v12
	s_wait_loadcnt 0x1
	v_mul_f32_e32 v18, v0, v42
	s_wait_loadcnt 0x0
	v_mul_f32_e32 v20, v2, v44
	global_load_b64 v[47:48], v61, s[8:9] offset:672
	s_clause 0x2
	global_load_b64 v[4:5], v[4:5], off
	global_load_b64 v[6:7], v[6:7], off
	;; [unrolled: 1-line block ×4, first 2 shown]
	s_clause 0x1
	global_load_b64 v[51:52], v61, s[8:9] offset:840
	global_load_b64 v[53:54], v61, s[8:9] offset:1008
	global_load_b64 v[13:14], v[13:14], off
	v_and_b32_e32 v17, 0x7f, v17
	v_mul_f32_e32 v15, v1, v42
	v_add_nc_u32_e32 v60, v61, v64
	s_load_b128 s[4:7], s[6:7], 0x0
	v_add_co_u32 v55, s0, s8, v61
	s_delay_alu instid0(VALU_DEP_3)
	v_fmac_f32_e32 v15, v0, v41
	s_wait_alu 0xf1ff
	v_add_co_ci_u32_e64 v56, null, s9, 0, s0
	s_wait_loadcnt 0x6
	v_mul_f32_e32 v0, v5, v46
	v_add_nc_u16 v16, v17, v16
	s_delay_alu instid0(VALU_DEP_2) | instskip(NEXT) | instid1(VALU_DEP_2)
	v_dual_mul_f32 v17, v3, v44 :: v_dual_fmac_f32 v0, v4, v45
	v_lshrrev_b16 v19, 2, v16
	s_wait_loadcnt 0x5
	s_delay_alu instid0(VALU_DEP_2)
	v_dual_fmac_f32 v17, v2, v43 :: v_dual_mul_f32 v2, v7, v50
	v_fma_f32 v16, v1, v41, -v18
	v_fma_f32 v18, v3, v43, -v20
	s_wait_loadcnt 0x4
	v_dual_mul_f32 v1, v4, v46 :: v_dual_mul_f32 v4, v9, v48
	v_mul_f32_e32 v3, v6, v50
	v_fmac_f32_e32 v2, v6, v49
	s_wait_loadcnt 0x2
	v_mul_f32_e32 v6, v11, v52
	v_fma_f32 v1, v5, v45, -v1
	v_mul_f32_e32 v5, v8, v48
	v_fmac_f32_e32 v4, v8, v47
	s_wait_loadcnt 0x0
	v_mul_f32_e32 v8, v14, v54
	v_fma_f32 v3, v7, v49, -v3
	v_dual_mul_f32 v7, v10, v52 :: v_dual_mul_f32 v20, v13, v54
	v_fmac_f32_e32 v6, v10, v51
	v_mul_lo_u16 v10, v19, 7
	v_fma_f32 v5, v9, v47, -v5
	s_delay_alu instid0(VALU_DEP_4)
	v_fma_f32 v7, v11, v51, -v7
	v_fmac_f32_e32 v8, v13, v53
	v_fma_f32 v9, v14, v53, -v20
	ds_store_2addr_b64 v60, v[15:16], v[17:18] offset1:21
	ds_store_2addr_b64 v60, v[0:1], v[2:3] offset0:42 offset1:63
	ds_store_2addr_b64 v60, v[4:5], v[6:7] offset0:84 offset1:105
	ds_store_b64 v60, v[8:9] offset:1008
	global_wb scope:SCOPE_SE
	s_wait_dscnt 0x0
	s_wait_kmcnt 0x0
	s_barrier_signal -1
	s_barrier_wait -1
	global_inv scope:SCOPE_SE
	ds_load_2addr_b64 v[0:3], v60 offset1:21
	ds_load_b64 v[13:14], v60 offset:1008
	v_sub_nc_u16 v15, v12, v10
	ds_load_2addr_b64 v[4:7], v60 offset0:42 offset1:63
	ds_load_2addr_b64 v[8:11], v60 offset0:84 offset1:105
	v_mul_lo_u16 v16, v12, 7
	global_wb scope:SCOPE_SE
	s_wait_dscnt 0x0
	s_barrier_signal -1
	v_and_b32_e32 v27, 0xff, v15
	s_barrier_wait -1
	v_and_b32_e32 v15, 0xffff, v16
	global_inv scope:SCOPE_SE
	v_mul_u32_u24_e32 v16, 6, v27
	v_lshl_add_u32 v63, v15, 3, v64
	s_delay_alu instid0(VALU_DEP_2)
	v_dual_add_f32 v16, v2, v13 :: v_dual_lshlrev_b32 v15, 3, v16
	v_dual_add_f32 v17, v3, v14 :: v_dual_sub_f32 v2, v2, v13
	v_sub_f32_e32 v3, v3, v14
	v_dual_add_f32 v13, v4, v10 :: v_dual_add_f32 v14, v5, v11
	v_dual_sub_f32 v4, v4, v10 :: v_dual_sub_f32 v5, v5, v11
	v_dual_add_f32 v10, v6, v8 :: v_dual_add_f32 v11, v7, v9
	v_dual_sub_f32 v6, v8, v6 :: v_dual_sub_f32 v7, v9, v7
	s_delay_alu instid0(VALU_DEP_4) | instskip(NEXT) | instid1(VALU_DEP_3)
	v_dual_add_f32 v8, v13, v16 :: v_dual_add_f32 v9, v14, v17
	v_dual_sub_f32 v18, v13, v16 :: v_dual_sub_f32 v13, v10, v13
	s_delay_alu instid0(VALU_DEP_4) | instskip(NEXT) | instid1(VALU_DEP_4)
	v_dual_sub_f32 v20, v14, v17 :: v_dual_sub_f32 v17, v17, v11
	v_dual_sub_f32 v16, v16, v10 :: v_dual_add_f32 v21, v6, v4
	v_dual_sub_f32 v14, v11, v14 :: v_dual_sub_f32 v23, v6, v4
	v_dual_sub_f32 v4, v4, v2 :: v_dual_add_f32 v9, v11, v9
	s_delay_alu instid0(VALU_DEP_4)
	v_dual_add_f32 v8, v10, v8 :: v_dual_mul_f32 v11, 0x3f4a47b2, v17
	v_add_f32_e32 v22, v7, v5
	v_sub_f32_e32 v24, v7, v5
	v_dual_sub_f32 v6, v2, v6 :: v_dual_sub_f32 v7, v3, v7
	v_dual_add_f32 v2, v21, v2 :: v_dual_mul_f32 v21, 0xbf08b237, v23
	v_dual_mul_f32 v10, 0x3f4a47b2, v16 :: v_dual_add_f32 v1, v1, v9
	v_dual_mul_f32 v16, 0x3d64c772, v13 :: v_dual_mul_f32 v17, 0x3d64c772, v14
	s_delay_alu instid0(VALU_DEP_2)
	v_dual_add_f32 v0, v0, v8 :: v_dual_fmamk_f32 v13, v13, 0x3d64c772, v10
	v_sub_f32_e32 v5, v5, v3
	v_add_f32_e32 v3, v22, v3
	v_mul_f32_e32 v23, 0x3f5ff5aa, v4
	v_fma_f32 v16, 0x3f3bfb3b, v18, -v16
	v_fma_f32 v17, 0x3f3bfb3b, v20, -v17
	;; [unrolled: 1-line block ×3, first 2 shown]
	v_fmamk_f32 v18, v6, 0x3eae86e6, v21
	v_fma_f32 v21, 0x3f5ff5aa, v4, -v21
	v_fmamk_f32 v4, v8, 0xbf955555, v0
	v_fmamk_f32 v14, v14, 0x3d64c772, v11
	v_fma_f32 v11, 0xbf3bfb3b, v20, -v11
	v_mul_f32_e32 v22, 0xbf08b237, v24
	v_mul_f32_e32 v24, 0x3f5ff5aa, v5
	v_fma_f32 v23, 0xbeae86e6, v6, -v23
	v_fmac_f32_e32 v21, 0x3ee1c552, v2
	s_delay_alu instid0(VALU_DEP_4) | instskip(SKIP_3) | instid1(VALU_DEP_4)
	v_fmamk_f32 v20, v7, 0x3eae86e6, v22
	v_fma_f32 v22, 0x3f5ff5aa, v5, -v22
	v_fmamk_f32 v5, v9, 0xbf955555, v1
	v_fma_f32 v24, 0xbeae86e6, v7, -v24
	v_dual_fmac_f32 v23, 0x3ee1c552, v2 :: v_dual_fmac_f32 v20, 0x3ee1c552, v3
	s_delay_alu instid0(VALU_DEP_3) | instskip(NEXT) | instid1(VALU_DEP_3)
	v_dual_fmac_f32 v22, 0x3ee1c552, v3 :: v_dual_add_f32 v9, v17, v5
	v_dual_fmac_f32 v24, 0x3ee1c552, v3 :: v_dual_add_f32 v13, v13, v4
	v_add_f32_e32 v8, v16, v4
	v_dual_add_f32 v10, v10, v4 :: v_dual_add_f32 v11, v11, v5
	v_fmac_f32_e32 v18, 0x3ee1c552, v2
	v_add_f32_e32 v14, v14, v5
	v_add_f32_e32 v7, v21, v9
	v_sub_f32_e32 v9, v9, v21
	v_and_b32_e32 v21, 0xffff, v19
	v_sub_f32_e32 v5, v11, v23
	v_add_f32_e32 v11, v23, v11
	v_sub_f32_e32 v3, v14, v18
	v_add_f32_e32 v4, v24, v10
	v_mul_u32_u24_e32 v28, 49, v21
	v_add_f32_e32 v2, v13, v20
	v_sub_f32_e32 v6, v8, v22
	v_add_f32_e32 v8, v22, v8
	v_sub_f32_e32 v10, v10, v24
	v_dual_sub_f32 v13, v13, v20 :: v_dual_add_f32 v14, v18, v14
	v_add_nc_u32_e32 v27, v28, v27
	ds_store_2addr_b64 v63, v[0:1], v[2:3] offset1:1
	ds_store_2addr_b64 v63, v[4:5], v[6:7] offset0:2 offset1:3
	ds_store_2addr_b64 v63, v[8:9], v[10:11] offset0:4 offset1:5
	ds_store_b64 v63, v[13:14] offset:48
	global_wb scope:SCOPE_SE
	s_wait_dscnt 0x0
	s_barrier_signal -1
	s_barrier_wait -1
	global_inv scope:SCOPE_SE
	s_clause 0x2
	global_load_b128 v[8:11], v15, s[10:11]
	global_load_b128 v[4:7], v15, s[10:11] offset:16
	global_load_b128 v[0:3], v15, s[10:11] offset:32
	ds_load_2addr_b64 v[13:16], v60 offset1:21
	ds_load_2addr_b64 v[17:20], v60 offset0:42 offset1:63
	ds_load_2addr_b64 v[21:24], v60 offset0:84 offset1:105
	ds_load_b64 v[25:26], v60 offset:1008
	v_lshl_add_u32 v62, v27, 3, v64
	global_wb scope:SCOPE_SE
	s_wait_loadcnt_dscnt 0x0
	s_barrier_signal -1
	s_barrier_wait -1
	global_inv scope:SCOPE_SE
	v_mul_f32_e32 v27, v16, v9
	v_dual_mul_f32 v28, v15, v9 :: v_dual_mul_f32 v33, v22, v7
	v_mul_f32_e32 v29, v18, v11
	v_mul_f32_e32 v31, v20, v5
	v_dual_mul_f32 v32, v19, v5 :: v_dual_mul_f32 v37, v26, v3
	v_dual_mul_f32 v35, v24, v1 :: v_dual_mul_f32 v38, v25, v3
	v_fma_f32 v15, v15, v8, -v27
	v_fmac_f32_e32 v28, v16, v8
	v_fma_f32 v16, v17, v10, -v29
	v_fmac_f32_e32 v32, v20, v4
	v_fmac_f32_e32 v38, v26, v2
	v_mul_f32_e32 v30, v17, v11
	v_fma_f32 v17, v19, v4, -v31
	v_fma_f32 v19, v25, v2, -v37
	;; [unrolled: 1-line block ×3, first 2 shown]
	v_mul_f32_e32 v34, v21, v7
	v_fmac_f32_e32 v30, v18, v10
	v_fma_f32 v18, v21, v6, -v33
	v_mul_f32_e32 v36, v23, v1
	v_add_f32_e32 v21, v15, v19
	v_add_f32_e32 v23, v16, v20
	v_sub_f32_e32 v15, v15, v19
	s_delay_alu instid0(VALU_DEP_4) | instskip(NEXT) | instid1(VALU_DEP_3)
	v_dual_add_f32 v25, v17, v18 :: v_dual_fmac_f32 v36, v24, v0
	v_dual_fmac_f32 v34, v22, v6 :: v_dual_add_f32 v27, v23, v21
	v_dual_sub_f32 v16, v16, v20 :: v_dual_sub_f32 v17, v18, v17
	v_sub_f32_e32 v29, v23, v21
	s_delay_alu instid0(VALU_DEP_4)
	v_sub_f32_e32 v21, v21, v25
	v_sub_f32_e32 v23, v25, v23
	v_dual_add_f32 v25, v25, v27 :: v_dual_add_f32 v22, v28, v38
	v_add_f32_e32 v31, v17, v16
	v_dual_add_f32 v24, v30, v36 :: v_dual_sub_f32 v19, v28, v38
	v_dual_add_f32 v26, v32, v34 :: v_dual_sub_f32 v33, v17, v16
	s_delay_alu instid0(VALU_DEP_2) | instskip(SKIP_2) | instid1(VALU_DEP_4)
	v_dual_sub_f32 v17, v15, v17 :: v_dual_add_f32 v28, v24, v22
	v_dual_mul_f32 v21, 0x3f4a47b2, v21 :: v_dual_sub_f32 v20, v30, v36
	v_dual_sub_f32 v30, v24, v22 :: v_dual_mul_f32 v27, 0x3d64c772, v23
	v_sub_f32_e32 v22, v22, v26
	v_dual_sub_f32 v24, v26, v24 :: v_dual_add_f32 v13, v13, v25
	v_add_f32_e32 v26, v26, v28
	v_dual_sub_f32 v18, v34, v32 :: v_dual_fmamk_f32 v23, v23, 0x3d64c772, v21
	v_fma_f32 v27, 0x3f3bfb3b, v29, -v27
	v_fma_f32 v21, 0xbf3bfb3b, v29, -v21
	s_delay_alu instid0(VALU_DEP_4) | instskip(SKIP_4) | instid1(VALU_DEP_4)
	v_add_f32_e32 v14, v14, v26
	v_sub_f32_e32 v16, v16, v15
	v_add_f32_e32 v15, v31, v15
	v_dual_mul_f32 v31, 0xbf08b237, v33 :: v_dual_add_f32 v32, v18, v20
	v_sub_f32_e32 v34, v18, v20
	v_dual_sub_f32 v18, v19, v18 :: v_dual_mul_f32 v33, 0x3f5ff5aa, v16
	s_delay_alu instid0(VALU_DEP_3) | instskip(NEXT) | instid1(VALU_DEP_2)
	v_fmamk_f32 v29, v17, 0x3eae86e6, v31
	v_fma_f32 v33, 0xbeae86e6, v17, -v33
	s_delay_alu instid0(VALU_DEP_2)
	v_fmac_f32_e32 v29, 0x3ee1c552, v15
	v_fmamk_f32 v17, v26, 0xbf955555, v14
	v_mul_f32_e32 v22, 0x3f4a47b2, v22
	v_fma_f32 v31, 0x3f5ff5aa, v16, -v31
	v_fmamk_f32 v16, v25, 0xbf955555, v13
	v_mul_f32_e32 v28, 0x3d64c772, v24
	v_sub_f32_e32 v20, v20, v19
	v_add_f32_e32 v19, v32, v19
	s_delay_alu instid0(VALU_DEP_4) | instskip(SKIP_3) | instid1(VALU_DEP_3)
	v_dual_fmac_f32 v33, 0x3ee1c552, v15 :: v_dual_add_f32 v26, v21, v16
	v_dual_fmamk_f32 v24, v24, 0x3d64c772, v22 :: v_dual_add_f32 v23, v23, v16
	v_mul_f32_e32 v32, 0xbf08b237, v34
	v_fmac_f32_e32 v31, 0x3ee1c552, v15
	v_add_f32_e32 v25, v24, v17
	v_fma_f32 v22, 0xbf3bfb3b, v30, -v22
	v_add_f32_e32 v24, v27, v16
	s_delay_alu instid0(VALU_DEP_3) | instskip(NEXT) | instid1(VALU_DEP_3)
	v_sub_f32_e32 v16, v25, v29
	v_add_f32_e32 v27, v22, v17
	v_fma_f32 v28, 0x3f3bfb3b, v30, -v28
	v_fmamk_f32 v30, v18, 0x3eae86e6, v32
	v_dual_mul_f32 v34, 0x3f5ff5aa, v20 :: v_dual_add_f32 v25, v29, v25
	s_delay_alu instid0(VALU_DEP_3) | instskip(NEXT) | instid1(VALU_DEP_3)
	v_add_f32_e32 v22, v28, v17
	v_fmac_f32_e32 v30, 0x3ee1c552, v19
	s_delay_alu instid0(VALU_DEP_3) | instskip(SKIP_1) | instid1(VALU_DEP_3)
	v_fma_f32 v34, 0xbeae86e6, v18, -v34
	v_dual_sub_f32 v18, v27, v33 :: v_dual_add_f32 v27, v33, v27
	v_add_f32_e32 v15, v30, v23
	v_fma_f32 v32, 0x3f5ff5aa, v20, -v32
	s_delay_alu instid0(VALU_DEP_4) | instskip(SKIP_2) | instid1(VALU_DEP_3)
	v_fmac_f32_e32 v34, 0x3ee1c552, v19
	v_add_f32_e32 v20, v31, v22
	v_sub_f32_e32 v22, v22, v31
	v_dual_fmac_f32 v32, 0x3ee1c552, v19 :: v_dual_add_f32 v17, v34, v26
	s_delay_alu instid0(VALU_DEP_1)
	v_dual_sub_f32 v26, v26, v34 :: v_dual_sub_f32 v19, v24, v32
	v_dual_add_f32 v21, v32, v24 :: v_dual_sub_f32 v24, v23, v30
	ds_store_2addr_b64 v62, v[13:14], v[15:16] offset1:7
	ds_store_2addr_b64 v62, v[17:18], v[19:20] offset0:14 offset1:21
	ds_store_2addr_b64 v62, v[21:22], v[26:27] offset0:28 offset1:35
	ds_store_b64 v62, v[24:25] offset:336
	global_wb scope:SCOPE_SE
	s_wait_dscnt 0x0
	s_barrier_signal -1
	s_barrier_wait -1
	global_inv scope:SCOPE_SE
	ds_load_2addr_b64 v[28:31], v60 offset1:21
	ds_load_2addr_b64 v[32:35], v60 offset0:49 offset1:70
	ds_load_2addr_b64 v[36:39], v60 offset0:98 offset1:119
	s_and_saveexec_b32 s0, vcc_lo
	s_cbranch_execz .LBB0_3
; %bb.2:
	ds_load_2addr_b64 v[24:27], v60 offset0:42 offset1:91
	ds_load_b64 v[57:58], v60 offset:1120
.LBB0_3:
	s_wait_alu 0xfffe
	s_or_b32 exec_lo, exec_lo, s0
	v_add_co_u32 v14, s0, v59, 42
	s_wait_alu 0xf1ff
	v_add_co_ci_u32_e64 v13, null, 0, 0, s0
	v_lshlrev_b32_e32 v12, 4, v59
	v_lshl_add_u32 v64, v59, 3, v64
	global_load_b128 v[16:19], v12, s[10:11] offset:336
	s_wait_loadcnt_dscnt 0x1
	v_dual_mul_f32 v65, v33, v17 :: v_dual_add_nc_u32 v12, 0x150, v12
	global_load_b128 v[20:23], v12, s[10:11] offset:336
	v_add_co_u32 v12, s0, v59, -7
	s_wait_alu 0xf1ff
	v_add_co_ci_u32_e64 v15, null, 0, -1, s0
	s_wait_dscnt 0x0
	s_delay_alu instid0(VALU_DEP_2) | instskip(SKIP_1) | instid1(VALU_DEP_3)
	v_dual_mul_f32 v67, v37, v19 :: v_dual_cndmask_b32 v12, v12, v14
	v_mul_f32_e32 v66, v32, v17
	v_dual_cndmask_b32 v13, v15, v13 :: v_dual_mul_f32 v68, v36, v19
	v_fma_f32 v32, v32, v16, -v65
	s_delay_alu instid0(VALU_DEP_3) | instskip(NEXT) | instid1(VALU_DEP_3)
	v_fmac_f32_e32 v66, v33, v16
	v_lshlrev_b64_e32 v[12:13], 4, v[12:13]
	v_fma_f32 v33, v36, v18, -v67
	s_delay_alu instid0(VALU_DEP_2) | instskip(SKIP_1) | instid1(VALU_DEP_3)
	v_add_co_u32 v12, s0, s10, v12
	s_wait_alu 0xf1ff
	v_add_co_ci_u32_e64 v13, s0, s11, v13, s0
	s_delay_alu instid0(VALU_DEP_3)
	v_sub_f32_e32 v70, v32, v33
	global_load_b128 v[12:15], v[12:13], off offset:336
	s_wait_loadcnt 0x1
	v_mul_f32_e32 v69, v38, v23
	v_mul_f32_e32 v65, v34, v21
	v_dual_mul_f32 v67, v39, v23 :: v_dual_fmac_f32 v68, v37, v18
	s_delay_alu instid0(VALU_DEP_3) | instskip(NEXT) | instid1(VALU_DEP_3)
	v_fmac_f32_e32 v69, v39, v22
	v_fmac_f32_e32 v65, v35, v20
	v_mul_f32_e32 v36, v35, v21
	s_delay_alu instid0(VALU_DEP_4)
	v_fma_f32 v35, v38, v22, -v67
	v_sub_f32_e32 v67, v66, v68
	v_add_f32_e32 v37, v32, v33
	v_add_f32_e32 v39, v29, v66
	v_fma_f32 v34, v34, v20, -v36
	v_add_f32_e32 v36, v28, v32
	v_add_f32_e32 v66, v66, v68
	v_fma_f32 v38, -0.5, v37, v28
	s_delay_alu instid0(VALU_DEP_4)
	v_dual_add_f32 v37, v39, v68 :: v_dual_add_f32 v28, v30, v34
	v_sub_f32_e32 v71, v65, v69
	v_add_f32_e32 v36, v36, v33
	v_fma_f32 v39, -0.5, v66, v29
	v_dual_add_f32 v29, v34, v35 :: v_dual_add_f32 v68, v31, v65
	v_dual_add_f32 v72, v65, v69 :: v_dual_sub_f32 v73, v34, v35
	v_fmamk_f32 v65, v67, 0x3f5db3d7, v38
	s_wait_loadcnt 0x0
	v_mul_f32_e32 v34, v27, v13
	v_dual_mul_f32 v33, v26, v13 :: v_dual_mul_f32 v32, v57, v15
	v_mul_f32_e32 v74, v58, v15
	v_fmac_f32_e32 v38, 0xbf5db3d7, v67
	v_dual_fmamk_f32 v66, v70, 0xbf5db3d7, v39 :: v_dual_add_f32 v67, v28, v35
	v_fmac_f32_e32 v39, 0x3f5db3d7, v70
	v_fma_f32 v35, v26, v12, -v34
	v_fma_f32 v34, v57, v14, -v74
	v_dual_fmac_f32 v33, v27, v12 :: v_dual_fmac_f32 v32, v58, v14
	v_fmac_f32_e32 v31, -0.5, v72
	v_fma_f32 v30, -0.5, v29, v30
	s_delay_alu instid0(VALU_DEP_4) | instskip(NEXT) | instid1(VALU_DEP_4)
	v_add_f32_e32 v26, v35, v34
	v_dual_add_f32 v68, v68, v69 :: v_dual_add_f32 v27, v33, v32
	v_sub_f32_e32 v69, v33, v32
	s_delay_alu instid0(VALU_DEP_4)
	v_fmamk_f32 v57, v71, 0x3f5db3d7, v30
	v_fmac_f32_e32 v30, 0xbf5db3d7, v71
	v_fma_f32 v28, -0.5, v26, v24
	v_sub_f32_e32 v70, v35, v34
	v_fma_f32 v29, -0.5, v27, v25
	v_fmamk_f32 v58, v73, 0xbf5db3d7, v31
	s_delay_alu instid0(VALU_DEP_4) | instskip(NEXT) | instid1(VALU_DEP_3)
	v_dual_fmac_f32 v31, 0x3f5db3d7, v73 :: v_dual_fmamk_f32 v26, v69, 0x3f5db3d7, v28
	v_dual_fmac_f32 v28, 0xbf5db3d7, v69 :: v_dual_fmamk_f32 v27, v70, 0xbf5db3d7, v29
	v_fmac_f32_e32 v29, 0x3f5db3d7, v70
	ds_store_2addr_b64 v64, v[65:66], v[38:39] offset0:49 offset1:98
	ds_store_2addr_b64 v60, v[36:37], v[67:68] offset1:21
	ds_store_2addr_b64 v60, v[57:58], v[30:31] offset0:70 offset1:119
	s_and_saveexec_b32 s0, vcc_lo
	s_cbranch_execz .LBB0_5
; %bb.4:
	v_dual_add_f32 v25, v25, v33 :: v_dual_add_f32 v24, v24, v35
	s_delay_alu instid0(VALU_DEP_1)
	v_dual_add_f32 v25, v25, v32 :: v_dual_add_f32 v24, v24, v34
	ds_store_b64 v60, v[24:25] offset:336
	ds_store_2addr_b64 v64, v[26:27], v[28:29] offset0:91 offset1:140
.LBB0_5:
	s_wait_alu 0xfffe
	s_or_b32 exec_lo, exec_lo, s0
	s_add_nc_u64 s[0:1], s[8:9], 0x498
	global_wb scope:SCOPE_SE
	s_wait_dscnt 0x0
	s_barrier_signal -1
	s_barrier_wait -1
	global_inv scope:SCOPE_SE
	s_clause 0x6
	global_load_b64 v[24:25], v[55:56], off offset:1176
	global_load_b64 v[38:39], v61, s[0:1] offset:168
	global_load_b64 v[65:66], v61, s[0:1] offset:336
	;; [unrolled: 1-line block ×6, first 2 shown]
	ds_load_2addr_b64 v[30:33], v60 offset1:21
	ds_load_2addr_b64 v[34:37], v60 offset0:42 offset1:63
	ds_load_2addr_b64 v[55:58], v60 offset0:84 offset1:105
	ds_load_b64 v[75:76], v60 offset:1008
	s_wait_loadcnt_dscnt 0x603
	v_mul_f32_e32 v61, v31, v25
	s_wait_loadcnt 0x5
	v_dual_mul_f32 v78, v30, v25 :: v_dual_mul_f32 v79, v33, v39
	s_wait_loadcnt_dscnt 0x402
	v_dual_mul_f32 v25, v32, v39 :: v_dual_mul_f32 v80, v35, v66
	v_mul_f32_e32 v39, v34, v66
	s_wait_loadcnt_dscnt 0x201
	v_dual_mul_f32 v81, v37, v68 :: v_dual_mul_f32 v82, v56, v70
	v_mul_f32_e32 v66, v36, v68
	s_wait_loadcnt 0x1
	v_dual_mul_f32 v68, v55, v70 :: v_dual_mul_f32 v83, v58, v72
	v_mul_f32_e32 v70, v57, v72
	s_wait_loadcnt_dscnt 0x0
	v_dual_mul_f32 v84, v76, v74 :: v_dual_fmac_f32 v39, v35, v65
	v_mul_f32_e32 v72, v75, v74
	v_fma_f32 v77, v30, v24, -v61
	v_dual_fmac_f32 v78, v31, v24 :: v_dual_fmac_f32 v25, v33, v38
	v_fma_f32 v24, v32, v38, -v79
	v_fma_f32 v38, v34, v65, -v80
	;; [unrolled: 1-line block ×3, first 2 shown]
	v_fmac_f32_e32 v66, v37, v67
	v_fma_f32 v67, v55, v69, -v82
	v_fmac_f32_e32 v68, v56, v69
	v_fma_f32 v69, v57, v71, -v83
	;; [unrolled: 2-line block ×3, first 2 shown]
	v_fmac_f32_e32 v72, v76, v73
	ds_store_2addr_b64 v60, v[77:78], v[24:25] offset1:21
	ds_store_2addr_b64 v60, v[38:39], v[65:66] offset0:42 offset1:63
	ds_store_2addr_b64 v60, v[67:68], v[69:70] offset0:84 offset1:105
	ds_store_b64 v60, v[71:72] offset:1008
	global_wb scope:SCOPE_SE
	s_wait_dscnt 0x0
	s_barrier_signal -1
	s_barrier_wait -1
	global_inv scope:SCOPE_SE
	ds_load_2addr_b64 v[30:33], v60 offset1:21
	ds_load_b64 v[24:25], v60 offset:1008
	ds_load_2addr_b64 v[34:37], v60 offset0:42 offset1:63
	ds_load_2addr_b64 v[55:58], v60 offset0:84 offset1:105
	global_wb scope:SCOPE_SE
	s_wait_dscnt 0x0
	s_barrier_signal -1
	s_barrier_wait -1
	global_inv scope:SCOPE_SE
	v_add_f32_e32 v39, v33, v25
	v_sub_f32_e32 v25, v33, v25
	v_add_f32_e32 v33, v35, v58
	v_dual_sub_f32 v35, v35, v58 :: v_dual_add_f32 v58, v37, v56
	v_sub_f32_e32 v37, v56, v37
	v_add_f32_e32 v38, v32, v24
	v_sub_f32_e32 v24, v32, v24
	v_add_f32_e32 v32, v34, v57
	v_add_f32_e32 v56, v33, v39
	v_sub_f32_e32 v65, v33, v39
	v_dual_sub_f32 v39, v39, v58 :: v_dual_sub_f32 v34, v34, v57
	v_dual_add_f32 v57, v36, v55 :: v_dual_sub_f32 v36, v55, v36
	v_sub_f32_e32 v61, v32, v38
	v_add_f32_e32 v55, v32, v38
	v_sub_f32_e32 v33, v58, v33
	s_delay_alu instid0(VALU_DEP_4)
	v_dual_sub_f32 v38, v38, v57 :: v_dual_add_f32 v67, v37, v35
	v_dual_add_f32 v66, v36, v34 :: v_dual_sub_f32 v69, v37, v35
	v_dual_sub_f32 v35, v35, v25 :: v_dual_add_f32 v56, v58, v56
	v_dual_sub_f32 v32, v57, v32 :: v_dual_mul_f32 v39, 0x3f4a47b2, v39
	v_dual_sub_f32 v68, v36, v34 :: v_dual_sub_f32 v37, v25, v37
	v_dual_sub_f32 v36, v24, v36 :: v_dual_add_f32 v55, v57, v55
	v_sub_f32_e32 v34, v34, v24
	v_dual_add_f32 v57, v66, v24 :: v_dual_add_f32 v58, v67, v25
	v_mul_f32_e32 v67, 0x3d64c772, v33
	v_mul_f32_e32 v69, 0x3f08b237, v69
	v_dual_mul_f32 v38, 0x3f4a47b2, v38 :: v_dual_add_f32 v25, v31, v56
	v_dual_mul_f32 v66, 0x3d64c772, v32 :: v_dual_fmamk_f32 v31, v33, 0x3d64c772, v39
	v_dual_mul_f32 v70, 0xbf5ff5aa, v34 :: v_dual_mul_f32 v71, 0xbf5ff5aa, v35
	v_fma_f32 v33, 0x3f3bfb3b, v65, -v67
	v_fma_f32 v39, 0xbf3bfb3b, v65, -v39
	;; [unrolled: 1-line block ×3, first 2 shown]
	v_dual_fmamk_f32 v35, v56, 0xbf955555, v25 :: v_dual_add_f32 v24, v30, v55
	v_fmamk_f32 v30, v32, 0x3d64c772, v38
	v_fma_f32 v32, 0x3f3bfb3b, v61, -v66
	v_fma_f32 v38, 0xbf3bfb3b, v61, -v38
	s_delay_alu instid0(VALU_DEP_4) | instskip(SKIP_3) | instid1(VALU_DEP_4)
	v_dual_add_f32 v39, v39, v35 :: v_dual_mul_f32 v68, 0x3f08b237, v68
	v_fmamk_f32 v65, v37, 0xbeae86e6, v69
	v_fma_f32 v69, 0x3eae86e6, v37, -v71
	v_add_f32_e32 v37, v33, v35
	v_fma_f32 v66, 0xbf5ff5aa, v34, -v68
	v_fmamk_f32 v34, v55, 0xbf955555, v24
	s_delay_alu instid0(VALU_DEP_1) | instskip(SKIP_4) | instid1(VALU_DEP_4)
	v_dual_fmac_f32 v66, 0xbee1c552, v57 :: v_dual_add_f32 v55, v30, v34
	v_fmamk_f32 v61, v36, 0xbeae86e6, v68
	v_fma_f32 v68, 0x3eae86e6, v36, -v70
	v_add_f32_e32 v38, v38, v34
	v_dual_add_f32 v56, v31, v35 :: v_dual_fmac_f32 v65, 0xbee1c552, v58
	v_dual_fmac_f32 v61, 0xbee1c552, v57 :: v_dual_add_f32 v36, v32, v34
	s_delay_alu instid0(VALU_DEP_4) | instskip(NEXT) | instid1(VALU_DEP_3)
	v_dual_fmac_f32 v67, 0xbee1c552, v58 :: v_dual_fmac_f32 v68, 0xbee1c552, v57
	v_dual_fmac_f32 v69, 0xbee1c552, v58 :: v_dual_add_f32 v30, v55, v65
	s_delay_alu instid0(VALU_DEP_3) | instskip(NEXT) | instid1(VALU_DEP_3)
	v_sub_f32_e32 v31, v56, v61
	v_dual_sub_f32 v34, v36, v67 :: v_dual_sub_f32 v33, v39, v68
	s_delay_alu instid0(VALU_DEP_3)
	v_dual_add_f32 v32, v69, v38 :: v_dual_add_f32 v35, v66, v37
	v_dual_add_f32 v36, v67, v36 :: v_dual_sub_f32 v37, v37, v66
	v_dual_sub_f32 v38, v38, v69 :: v_dual_add_f32 v39, v68, v39
	v_dual_add_f32 v56, v61, v56 :: v_dual_sub_f32 v55, v55, v65
	ds_store_2addr_b64 v63, v[24:25], v[30:31] offset1:1
	ds_store_2addr_b64 v63, v[32:33], v[34:35] offset0:2 offset1:3
	ds_store_2addr_b64 v63, v[36:37], v[38:39] offset0:4 offset1:5
	ds_store_b64 v63, v[55:56] offset:48
	global_wb scope:SCOPE_SE
	s_wait_dscnt 0x0
	s_barrier_signal -1
	s_barrier_wait -1
	global_inv scope:SCOPE_SE
	ds_load_2addr_b64 v[30:33], v60 offset1:21
	ds_load_2addr_b64 v[34:37], v60 offset0:42 offset1:63
	ds_load_2addr_b64 v[55:58], v60 offset0:84 offset1:105
	ds_load_b64 v[24:25], v60 offset:1008
	global_wb scope:SCOPE_SE
	s_wait_dscnt 0x0
	s_barrier_signal -1
	s_barrier_wait -1
	global_inv scope:SCOPE_SE
	v_dual_mul_f32 v38, v9, v33 :: v_dual_mul_f32 v39, v11, v35
	v_dual_mul_f32 v9, v9, v32 :: v_dual_mul_f32 v66, v3, v25
	v_mul_f32_e32 v11, v11, v34
	v_mul_f32_e32 v65, v1, v58
	s_delay_alu instid0(VALU_DEP_4) | instskip(NEXT) | instid1(VALU_DEP_4)
	v_dual_mul_f32 v1, v1, v57 :: v_dual_fmac_f32 v38, v8, v32
	v_fma_f32 v8, v8, v33, -v9
	v_fmac_f32_e32 v66, v2, v24
	v_fma_f32 v9, v10, v35, -v11
	v_fmac_f32_e32 v65, v0, v57
	;; [unrolled: 2-line block ×3, first 2 shown]
	v_add_f32_e32 v1, v38, v66
	v_mul_f32_e32 v61, v5, v37
	s_delay_alu instid0(VALU_DEP_3) | instskip(SKIP_3) | instid1(VALU_DEP_3)
	v_sub_f32_e32 v10, v39, v65
	v_mul_f32_e32 v3, v3, v24
	v_mul_f32_e32 v63, v7, v56
	;; [unrolled: 1-line block ×3, first 2 shown]
	v_fma_f32 v2, v2, v25, -v3
	v_mul_f32_e32 v5, v5, v36
	s_delay_alu instid0(VALU_DEP_4) | instskip(NEXT) | instid1(VALU_DEP_4)
	v_fmac_f32_e32 v63, v6, v55
	v_fma_f32 v3, v6, v56, -v7
	v_dual_sub_f32 v6, v38, v66 :: v_dual_fmac_f32 v61, v4, v36
	s_delay_alu instid0(VALU_DEP_4)
	v_fma_f32 v4, v4, v37, -v5
	v_add_f32_e32 v5, v8, v2
	v_sub_f32_e32 v2, v8, v2
	v_add_f32_e32 v8, v9, v0
	v_dual_sub_f32 v0, v9, v0 :: v_dual_add_f32 v7, v39, v65
	v_add_f32_e32 v11, v4, v3
	s_delay_alu instid0(VALU_DEP_2) | instskip(NEXT) | instid1(VALU_DEP_3)
	v_dual_sub_f32 v3, v3, v4 :: v_dual_sub_f32 v38, v0, v2
	v_add_f32_e32 v4, v7, v1
	v_sub_f32_e32 v32, v7, v1
	v_dual_sub_f32 v24, v63, v61 :: v_dual_add_f32 v9, v61, v63
	s_delay_alu instid0(VALU_DEP_4) | instskip(SKIP_2) | instid1(VALU_DEP_4)
	v_add_f32_e32 v35, v3, v0
	v_sub_f32_e32 v37, v3, v0
	v_mul_f32_e32 v39, 0xbf5ff5aa, v38
	v_add_f32_e32 v34, v24, v10
	v_sub_f32_e32 v36, v24, v10
	v_sub_f32_e32 v24, v6, v24
	;; [unrolled: 1-line block ×3, first 2 shown]
	v_dual_add_f32 v4, v9, v4 :: v_dual_add_f32 v25, v8, v5
	v_add_f32_e32 v6, v34, v6
	v_dual_sub_f32 v3, v2, v3 :: v_dual_add_f32 v2, v35, v2
	v_mul_f32_e32 v35, 0x3f08b237, v36
	v_sub_f32_e32 v33, v8, v5
	v_dual_sub_f32 v1, v1, v9 :: v_dual_add_f32 v0, v30, v4
	v_dual_sub_f32 v8, v11, v8 :: v_dual_sub_f32 v7, v9, v7
	v_mul_f32_e32 v36, 0x3f08b237, v37
	v_mul_f32_e32 v37, 0xbf5ff5aa, v10
	v_fma_f32 v10, 0xbf5ff5aa, v10, -v35
	v_add_f32_e32 v9, v11, v25
	v_dual_mul_f32 v25, 0x3d64c772, v7 :: v_dual_mul_f32 v34, 0x3d64c772, v8
	s_delay_alu instid0(VALU_DEP_3) | instskip(SKIP_1) | instid1(VALU_DEP_3)
	v_dual_fmac_f32 v10, 0xbee1c552, v6 :: v_dual_sub_f32 v5, v5, v11
	v_mul_f32_e32 v11, 0x3f4a47b2, v1
	v_fma_f32 v25, 0x3f3bfb3b, v32, -v25
	s_delay_alu instid0(VALU_DEP_4)
	v_fma_f32 v30, 0x3f3bfb3b, v33, -v34
	v_fma_f32 v34, 0x3eae86e6, v3, -v39
	v_add_f32_e32 v1, v31, v9
	v_fmamk_f32 v7, v7, 0x3d64c772, v11
	v_fma_f32 v11, 0xbf3bfb3b, v32, -v11
	v_fmamk_f32 v32, v3, 0xbeae86e6, v36
	v_fmac_f32_e32 v34, 0xbee1c552, v2
	s_delay_alu instid0(VALU_DEP_2) | instskip(SKIP_2) | instid1(VALU_DEP_1)
	v_fmac_f32_e32 v32, 0xbee1c552, v2
	v_fmamk_f32 v3, v4, 0xbf955555, v0
	v_mul_f32_e32 v5, 0x3f4a47b2, v5
	v_dual_add_f32 v11, v11, v3 :: v_dual_fmamk_f32 v8, v8, 0x3d64c772, v5
	v_fma_f32 v5, 0xbf3bfb3b, v33, -v5
	v_fmamk_f32 v31, v24, 0xbeae86e6, v35
	v_fma_f32 v33, 0xbf5ff5aa, v38, -v36
	v_add_f32_e32 v35, v7, v3
	s_delay_alu instid0(VALU_DEP_1) | instskip(SKIP_1) | instid1(VALU_DEP_1)
	v_dual_fmac_f32 v33, 0xbee1c552, v2 :: v_dual_add_f32 v2, v32, v35
	v_fma_f32 v24, 0x3eae86e6, v24, -v37
	v_fmac_f32_e32 v24, 0xbee1c552, v6
	v_fmamk_f32 v4, v9, 0xbf955555, v1
	s_delay_alu instid0(VALU_DEP_1)
	v_add_f32_e32 v9, v30, v4
	v_add_nc_u32_e32 v30, 0xa8, v60
	v_add_f32_e32 v36, v8, v4
	v_add_f32_e32 v8, v25, v3
	;; [unrolled: 1-line block ×4, first 2 shown]
	v_sub_f32_e32 v9, v9, v10
	v_sub_f32_e32 v10, v11, v34
	v_dual_fmac_f32 v31, 0xbee1c552, v6 :: v_dual_add_f32 v4, v34, v11
	v_dual_sub_f32 v5, v25, v24 :: v_dual_sub_f32 v6, v8, v33
	s_delay_alu instid0(VALU_DEP_2)
	v_dual_add_f32 v8, v33, v8 :: v_dual_sub_f32 v3, v36, v31
	v_dual_add_f32 v11, v24, v25 :: v_dual_sub_f32 v24, v35, v32
	v_add_f32_e32 v25, v31, v36
	ds_store_2addr_b64 v62, v[0:1], v[2:3] offset1:7
	ds_store_2addr_b64 v62, v[4:5], v[6:7] offset0:14 offset1:21
	ds_store_2addr_b64 v62, v[8:9], v[10:11] offset0:28 offset1:35
	ds_store_b64 v62, v[24:25] offset:336
	global_wb scope:SCOPE_SE
	s_wait_dscnt 0x0
	s_barrier_signal -1
	s_barrier_wait -1
	global_inv scope:SCOPE_SE
	ds_load_2addr_b64 v[0:3], v60 offset1:21
	ds_load_2addr_b64 v[8:11], v60 offset0:49 offset1:70
	ds_load_2addr_b64 v[4:7], v60 offset0:98 offset1:119
	s_and_saveexec_b32 s0, vcc_lo
	s_cbranch_execz .LBB0_7
; %bb.6:
	ds_load_2addr_b64 v[24:27], v60 offset0:42 offset1:91
	ds_load_b64 v[28:29], v60 offset:1120
.LBB0_7:
	s_wait_alu 0xfffe
	s_or_b32 exec_lo, exec_lo, s0
	s_wait_dscnt 0x0
	v_mul_f32_e32 v32, v19, v5
	v_mul_f32_e32 v31, v17, v9
	;; [unrolled: 1-line block ×4, first 2 shown]
	s_delay_alu instid0(VALU_DEP_4) | instskip(NEXT) | instid1(VALU_DEP_4)
	v_fmac_f32_e32 v32, v18, v4
	v_dual_mul_f32 v4, v21, v10 :: v_dual_fmac_f32 v31, v16, v8
	s_delay_alu instid0(VALU_DEP_4) | instskip(SKIP_4) | instid1(VALU_DEP_4)
	v_fma_f32 v8, v16, v9, -v17
	v_mul_f32_e32 v9, v21, v11
	v_fma_f32 v5, v18, v5, -v19
	v_mul_f32_e32 v16, v23, v7
	v_fma_f32 v11, v20, v11, -v4
	v_dual_add_f32 v4, v31, v32 :: v_dual_fmac_f32 v9, v20, v10
	v_mul_f32_e32 v10, v23, v6
	s_delay_alu instid0(VALU_DEP_4) | instskip(SKIP_1) | instid1(VALU_DEP_3)
	v_fmac_f32_e32 v16, v22, v6
	v_sub_f32_e32 v18, v31, v32
	v_fma_f32 v17, v22, v7, -v10
	v_add_f32_e32 v7, v8, v5
	v_sub_f32_e32 v10, v8, v5
	v_add_f32_e32 v8, v1, v8
	s_delay_alu instid0(VALU_DEP_4) | instskip(NEXT) | instid1(VALU_DEP_4)
	v_dual_sub_f32 v20, v9, v16 :: v_dual_sub_f32 v19, v11, v17
	v_fma_f32 v1, -0.5, v7, v1
	v_add_f32_e32 v6, v0, v31
	v_fma_f32 v0, -0.5, v4, v0
	v_add_f32_e32 v5, v8, v5
	s_delay_alu instid0(VALU_DEP_4) | instskip(NEXT) | instid1(VALU_DEP_4)
	v_fmamk_f32 v7, v18, 0x3f5db3d7, v1
	v_dual_add_f32 v4, v6, v32 :: v_dual_fmac_f32 v1, 0xbf5db3d7, v18
	s_delay_alu instid0(VALU_DEP_4) | instskip(SKIP_3) | instid1(VALU_DEP_2)
	v_fmamk_f32 v6, v10, 0xbf5db3d7, v0
	v_fmac_f32_e32 v0, 0x3f5db3d7, v10
	v_add_f32_e32 v10, v11, v17
	v_dual_add_f32 v11, v3, v11 :: v_dual_add_f32 v18, v2, v9
	v_dual_fmac_f32 v3, -0.5, v10 :: v_dual_add_f32 v8, v9, v16
	s_delay_alu instid0(VALU_DEP_2) | instskip(NEXT) | instid1(VALU_DEP_2)
	v_add_f32_e32 v9, v11, v17
	v_fmamk_f32 v11, v20, 0x3f5db3d7, v3
	s_delay_alu instid0(VALU_DEP_3) | instskip(SKIP_1) | instid1(VALU_DEP_2)
	v_fma_f32 v2, -0.5, v8, v2
	v_add_f32_e32 v8, v18, v16
	v_dual_fmac_f32 v3, 0xbf5db3d7, v20 :: v_dual_fmamk_f32 v10, v19, 0xbf5db3d7, v2
	v_fmac_f32_e32 v2, 0x3f5db3d7, v19
	ds_store_b64 v60, v[4:5]
	ds_store_2addr_b64 v64, v[6:7], v[0:1] offset0:49 offset1:98
	ds_store_b64 v60, v[8:9] offset:168
	ds_store_2addr_b64 v30, v[10:11], v[2:3] offset0:49 offset1:98
	s_and_saveexec_b32 s0, vcc_lo
	s_cbranch_execz .LBB0_9
; %bb.8:
	v_dual_mul_f32 v0, v13, v26 :: v_dual_mul_f32 v1, v15, v28
	s_delay_alu instid0(VALU_DEP_1) | instskip(NEXT) | instid1(VALU_DEP_2)
	v_fma_f32 v0, v12, v27, -v0
	v_fma_f32 v3, v14, v29, -v1
	s_delay_alu instid0(VALU_DEP_2) | instskip(NEXT) | instid1(VALU_DEP_1)
	v_dual_mul_f32 v4, v15, v29 :: v_dual_add_f32 v7, v25, v0
	v_dual_add_f32 v1, v0, v3 :: v_dual_fmac_f32 v4, v14, v28
	s_delay_alu instid0(VALU_DEP_1) | instskip(SKIP_2) | instid1(VALU_DEP_2)
	v_fma_f32 v1, -0.5, v1, v25
	v_mul_f32_e32 v2, v13, v27
	v_sub_f32_e32 v8, v0, v3
	v_dual_add_f32 v3, v7, v3 :: v_dual_fmac_f32 v2, v12, v26
	s_delay_alu instid0(VALU_DEP_1) | instskip(SKIP_2) | instid1(VALU_DEP_3)
	v_add_f32_e32 v5, v2, v4
	v_sub_f32_e32 v6, v2, v4
	v_add_f32_e32 v2, v24, v2
	v_fma_f32 v0, -0.5, v5, v24
	s_delay_alu instid0(VALU_DEP_3) | instskip(NEXT) | instid1(VALU_DEP_3)
	v_fmamk_f32 v5, v6, 0xbf5db3d7, v1
	v_dual_add_f32 v2, v2, v4 :: v_dual_fmac_f32 v1, 0x3f5db3d7, v6
	s_delay_alu instid0(VALU_DEP_3)
	v_fmamk_f32 v4, v8, 0x3f5db3d7, v0
	v_fmac_f32_e32 v0, 0xbf5db3d7, v8
	ds_store_b64 v60, v[2:3] offset:336
	ds_store_2addr_b64 v64, v[0:1], v[4:5] offset0:91 offset1:140
.LBB0_9:
	s_wait_alu 0xfffe
	s_or_b32 exec_lo, exec_lo, s0
	global_wb scope:SCOPE_SE
	s_wait_dscnt 0x0
	s_barrier_signal -1
	s_barrier_wait -1
	global_inv scope:SCOPE_SE
	ds_load_2addr_b64 v[0:3], v60 offset1:21
	ds_load_2addr_b64 v[4:7], v60 offset0:42 offset1:63
	ds_load_2addr_b64 v[8:11], v60 offset0:84 offset1:105
	ds_load_b64 v[12:13], v60 offset:1008
	v_mad_co_u64_u32 v[28:29], null, s6, v40, 0
	v_mad_co_u64_u32 v[30:31], null, s4, v59, 0
	s_mov_b32 s0, 0x899406f7
	s_mov_b32 s1, 0x3f7bdd2b
	s_delay_alu instid0(VALU_DEP_1)
	v_mad_co_u64_u32 v[32:33], null, s7, v40, v[29:30]
	s_wait_dscnt 0x3
	v_dual_mul_f32 v14, v42, v1 :: v_dual_mul_f32 v17, v44, v2
	s_wait_dscnt 0x1
	v_dual_mul_f32 v19, v46, v4 :: v_dual_mul_f32 v22, v48, v9
	v_dual_mul_f32 v15, v42, v0 :: v_dual_mul_f32 v16, v44, v3
	;; [unrolled: 1-line block ×3, first 2 shown]
	v_dual_mul_f32 v20, v50, v7 :: v_dual_mov_b32 v29, v32
	v_dual_mul_f32 v21, v50, v6 :: v_dual_fmac_f32 v14, v41, v0
	v_mad_co_u64_u32 v[33:34], null, s5, v59, v[31:32]
	v_fmac_f32_e32 v22, v47, v8
	v_mul_f32_e32 v8, v48, v8
	v_fma_f32 v15, v41, v1, -v15
	v_mul_f32_e32 v24, v52, v11
	s_wait_dscnt 0x0
	v_dual_fmac_f32 v16, v43, v2 :: v_dual_mul_f32 v27, v54, v12
	v_fma_f32 v17, v43, v3, -v17
	v_mul_f32_e32 v26, v54, v13
	v_fmac_f32_e32 v18, v45, v4
	v_fma_f32 v19, v45, v5, -v19
	v_fmac_f32_e32 v20, v49, v6
	v_fma_f32 v21, v49, v7, -v21
	v_fma_f32 v8, v47, v9, -v8
	v_cvt_f64_f32_e32 v[0:1], v14
	v_cvt_f64_f32_e32 v[2:3], v15
	v_fmac_f32_e32 v24, v51, v10
	v_fma_f32 v25, v51, v11, -v25
	v_cvt_f64_f32_e32 v[4:5], v16
	v_cvt_f64_f32_e32 v[6:7], v17
	v_fmac_f32_e32 v26, v53, v12
	v_fma_f32 v27, v53, v13, -v27
	v_cvt_f64_f32_e32 v[14:15], v18
	v_cvt_f64_f32_e32 v[16:17], v19
	v_cvt_f64_f32_e32 v[18:19], v20
	v_cvt_f64_f32_e32 v[20:21], v21
	v_cvt_f64_f32_e32 v[8:9], v8
	v_mov_b32_e32 v31, v33
	v_cvt_f64_f32_e32 v[22:23], v22
	v_cvt_f64_f32_e32 v[10:11], v24
	;; [unrolled: 1-line block ×5, first 2 shown]
	v_lshlrev_b64_e32 v[28:29], 3, v[28:29]
	v_lshlrev_b64_e32 v[30:31], 3, v[30:31]
	s_delay_alu instid0(VALU_DEP_2) | instskip(SKIP_1) | instid1(VALU_DEP_3)
	v_add_co_u32 v28, vcc_lo, s2, v28
	s_wait_alu 0xfffd
	v_add_co_ci_u32_e32 v29, vcc_lo, s3, v29, vcc_lo
	s_wait_alu 0xfffe
	v_mul_f64_e32 v[0:1], s[0:1], v[0:1]
	v_mul_f64_e32 v[2:3], s[0:1], v[2:3]
	;; [unrolled: 1-line block ×14, first 2 shown]
	s_mul_u64 s[0:1], s[4:5], 0xa8
	v_cvt_f32_f64_e32 v0, v[0:1]
	v_cvt_f32_f64_e32 v1, v[2:3]
	;; [unrolled: 1-line block ×14, first 2 shown]
	v_add_co_u32 v12, vcc_lo, v28, v30
	s_wait_alu 0xfffd
	v_add_co_ci_u32_e32 v13, vcc_lo, v29, v31, vcc_lo
	s_wait_alu 0xfffe
	s_delay_alu instid0(VALU_DEP_2) | instskip(SKIP_1) | instid1(VALU_DEP_2)
	v_add_co_u32 v16, vcc_lo, v12, s0
	s_wait_alu 0xfffd
	v_add_co_ci_u32_e32 v17, vcc_lo, s1, v13, vcc_lo
	s_delay_alu instid0(VALU_DEP_2) | instskip(SKIP_1) | instid1(VALU_DEP_2)
	v_add_co_u32 v18, vcc_lo, v16, s0
	s_wait_alu 0xfffd
	v_add_co_ci_u32_e32 v19, vcc_lo, s1, v17, vcc_lo
	;; [unrolled: 4-line block ×6, first 2 shown]
	s_clause 0x4
	global_store_b64 v[12:13], v[0:1], off
	global_store_b64 v[16:17], v[2:3], off
	;; [unrolled: 1-line block ×7, first 2 shown]
.LBB0_10:
	s_nop 0
	s_sendmsg sendmsg(MSG_DEALLOC_VGPRS)
	s_endpgm
	.section	.rodata,"a",@progbits
	.p2align	6, 0x0
	.amdhsa_kernel bluestein_single_fwd_len147_dim1_sp_op_CI_CI
		.amdhsa_group_segment_fixed_size 3528
		.amdhsa_private_segment_fixed_size 0
		.amdhsa_kernarg_size 104
		.amdhsa_user_sgpr_count 2
		.amdhsa_user_sgpr_dispatch_ptr 0
		.amdhsa_user_sgpr_queue_ptr 0
		.amdhsa_user_sgpr_kernarg_segment_ptr 1
		.amdhsa_user_sgpr_dispatch_id 0
		.amdhsa_user_sgpr_private_segment_size 0
		.amdhsa_wavefront_size32 1
		.amdhsa_uses_dynamic_stack 0
		.amdhsa_enable_private_segment 0
		.amdhsa_system_sgpr_workgroup_id_x 1
		.amdhsa_system_sgpr_workgroup_id_y 0
		.amdhsa_system_sgpr_workgroup_id_z 0
		.amdhsa_system_sgpr_workgroup_info 0
		.amdhsa_system_vgpr_workitem_id 0
		.amdhsa_next_free_vgpr 85
		.amdhsa_next_free_sgpr 20
		.amdhsa_reserve_vcc 1
		.amdhsa_float_round_mode_32 0
		.amdhsa_float_round_mode_16_64 0
		.amdhsa_float_denorm_mode_32 3
		.amdhsa_float_denorm_mode_16_64 3
		.amdhsa_fp16_overflow 0
		.amdhsa_workgroup_processor_mode 1
		.amdhsa_memory_ordered 1
		.amdhsa_forward_progress 0
		.amdhsa_round_robin_scheduling 0
		.amdhsa_exception_fp_ieee_invalid_op 0
		.amdhsa_exception_fp_denorm_src 0
		.amdhsa_exception_fp_ieee_div_zero 0
		.amdhsa_exception_fp_ieee_overflow 0
		.amdhsa_exception_fp_ieee_underflow 0
		.amdhsa_exception_fp_ieee_inexact 0
		.amdhsa_exception_int_div_zero 0
	.end_amdhsa_kernel
	.text
.Lfunc_end0:
	.size	bluestein_single_fwd_len147_dim1_sp_op_CI_CI, .Lfunc_end0-bluestein_single_fwd_len147_dim1_sp_op_CI_CI
                                        ; -- End function
	.section	.AMDGPU.csdata,"",@progbits
; Kernel info:
; codeLenInByte = 6136
; NumSgprs: 22
; NumVgprs: 85
; ScratchSize: 0
; MemoryBound: 0
; FloatMode: 240
; IeeeMode: 1
; LDSByteSize: 3528 bytes/workgroup (compile time only)
; SGPRBlocks: 2
; VGPRBlocks: 10
; NumSGPRsForWavesPerEU: 22
; NumVGPRsForWavesPerEU: 85
; Occupancy: 16
; WaveLimiterHint : 1
; COMPUTE_PGM_RSRC2:SCRATCH_EN: 0
; COMPUTE_PGM_RSRC2:USER_SGPR: 2
; COMPUTE_PGM_RSRC2:TRAP_HANDLER: 0
; COMPUTE_PGM_RSRC2:TGID_X_EN: 1
; COMPUTE_PGM_RSRC2:TGID_Y_EN: 0
; COMPUTE_PGM_RSRC2:TGID_Z_EN: 0
; COMPUTE_PGM_RSRC2:TIDIG_COMP_CNT: 0
	.text
	.p2alignl 7, 3214868480
	.fill 96, 4, 3214868480
	.type	__hip_cuid_d757e345b7b1333e,@object ; @__hip_cuid_d757e345b7b1333e
	.section	.bss,"aw",@nobits
	.globl	__hip_cuid_d757e345b7b1333e
__hip_cuid_d757e345b7b1333e:
	.byte	0                               ; 0x0
	.size	__hip_cuid_d757e345b7b1333e, 1

	.ident	"AMD clang version 19.0.0git (https://github.com/RadeonOpenCompute/llvm-project roc-6.4.0 25133 c7fe45cf4b819c5991fe208aaa96edf142730f1d)"
	.section	".note.GNU-stack","",@progbits
	.addrsig
	.addrsig_sym __hip_cuid_d757e345b7b1333e
	.amdgpu_metadata
---
amdhsa.kernels:
  - .args:
      - .actual_access:  read_only
        .address_space:  global
        .offset:         0
        .size:           8
        .value_kind:     global_buffer
      - .actual_access:  read_only
        .address_space:  global
        .offset:         8
        .size:           8
        .value_kind:     global_buffer
      - .actual_access:  read_only
        .address_space:  global
        .offset:         16
        .size:           8
        .value_kind:     global_buffer
      - .actual_access:  read_only
        .address_space:  global
        .offset:         24
        .size:           8
        .value_kind:     global_buffer
      - .actual_access:  read_only
        .address_space:  global
        .offset:         32
        .size:           8
        .value_kind:     global_buffer
      - .offset:         40
        .size:           8
        .value_kind:     by_value
      - .address_space:  global
        .offset:         48
        .size:           8
        .value_kind:     global_buffer
      - .address_space:  global
        .offset:         56
        .size:           8
        .value_kind:     global_buffer
      - .address_space:  global
        .offset:         64
        .size:           8
        .value_kind:     global_buffer
      - .address_space:  global
        .offset:         72
        .size:           8
        .value_kind:     global_buffer
      - .offset:         80
        .size:           4
        .value_kind:     by_value
      - .address_space:  global
        .offset:         88
        .size:           8
        .value_kind:     global_buffer
      - .address_space:  global
        .offset:         96
        .size:           8
        .value_kind:     global_buffer
    .group_segment_fixed_size: 3528
    .kernarg_segment_align: 8
    .kernarg_segment_size: 104
    .language:       OpenCL C
    .language_version:
      - 2
      - 0
    .max_flat_workgroup_size: 63
    .name:           bluestein_single_fwd_len147_dim1_sp_op_CI_CI
    .private_segment_fixed_size: 0
    .sgpr_count:     22
    .sgpr_spill_count: 0
    .symbol:         bluestein_single_fwd_len147_dim1_sp_op_CI_CI.kd
    .uniform_work_group_size: 1
    .uses_dynamic_stack: false
    .vgpr_count:     85
    .vgpr_spill_count: 0
    .wavefront_size: 32
    .workgroup_processor_mode: 1
amdhsa.target:   amdgcn-amd-amdhsa--gfx1201
amdhsa.version:
  - 1
  - 2
...

	.end_amdgpu_metadata
